;; amdgpu-corpus repo=ROCm/rocFFT kind=compiled arch=gfx906 opt=O3
	.text
	.amdgcn_target "amdgcn-amd-amdhsa--gfx906"
	.amdhsa_code_object_version 6
	.protected	fft_rtc_fwd_len84_factors_2_6_7_wgs_126_tpt_14_dim1_sp_op_CI_CI_unitstride_sbrr_C2R_dirReg ; -- Begin function fft_rtc_fwd_len84_factors_2_6_7_wgs_126_tpt_14_dim1_sp_op_CI_CI_unitstride_sbrr_C2R_dirReg
	.globl	fft_rtc_fwd_len84_factors_2_6_7_wgs_126_tpt_14_dim1_sp_op_CI_CI_unitstride_sbrr_C2R_dirReg
	.p2align	8
	.type	fft_rtc_fwd_len84_factors_2_6_7_wgs_126_tpt_14_dim1_sp_op_CI_CI_unitstride_sbrr_C2R_dirReg,@function
fft_rtc_fwd_len84_factors_2_6_7_wgs_126_tpt_14_dim1_sp_op_CI_CI_unitstride_sbrr_C2R_dirReg: ; @fft_rtc_fwd_len84_factors_2_6_7_wgs_126_tpt_14_dim1_sp_op_CI_CI_unitstride_sbrr_C2R_dirReg
; %bb.0:
	v_mul_u32_u24_e32 v1, 0x124a, v0
	v_lshrrev_b32_e32 v1, 16, v1
	v_mad_u64_u32 v[12:13], s[0:1], s6, 9, v[1:2]
	s_mov_b32 s0, 0x38e38e39
	s_load_dwordx4 s[8:11], s[4:5], 0x18
	v_mul_hi_u32 v2, v12, s0
	v_mov_b32_e32 v13, 0
	s_movk_i32 s2, 0x124a
                                        ; implicit-def: $vgpr10
	s_waitcnt lgkmcnt(0)
	v_cmp_gt_u64_e32 vcc, s[10:11], v[12:13]
	v_lshrrev_b32_e32 v2, 1, v2
	v_lshl_add_u32 v2, v2, 3, v2
	v_cmp_le_u64_e64 s[0:1], s[10:11], v[12:13]
	v_sub_u32_e32 v2, v12, v2
                                        ; implicit-def: $vgpr13
	s_and_saveexec_b64 s[6:7], s[0:1]
	s_xor_b64 s[0:1], exec, s[6:7]
; %bb.1:
	v_mul_u32_u24_sdwa v1, v0, s2 dst_sel:DWORD dst_unused:UNUSED_PAD src0_sel:WORD_0 src1_sel:DWORD
	v_mov_b32_e32 v3, 14
	v_mul_lo_u16_sdwa v1, v1, v3 dst_sel:DWORD dst_unused:UNUSED_PAD src0_sel:WORD_1 src1_sel:DWORD
	v_sub_u16_e32 v10, v0, v1
	v_sub_u16_e32 v13, v0, v1
                                        ; implicit-def: $vgpr1
                                        ; implicit-def: $vgpr0
; %bb.2:
	s_or_saveexec_b64 s[10:11], s[0:1]
	s_load_dwordx2 s[6:7], s[4:5], 0x0
	s_load_dwordx2 s[2:3], s[8:9], 0x8
	v_mul_u32_u24_e32 v3, 0x55, v2
	v_lshlrev_b32_e32 v2, 3, v3
	s_xor_b64 exec, exec, s[10:11]
	s_cbranch_execz .LBB0_6
; %bb.3:
	s_load_dwordx2 s[0:1], s[4:5], 0x10
	v_mul_lo_u16_e32 v7, 14, v1
	v_sub_u16_e32 v10, v0, v7
	v_lshlrev_b32_e32 v11, 3, v10
	s_waitcnt lgkmcnt(0)
	s_load_dwordx2 s[0:1], s[0:1], 0x8
	s_waitcnt lgkmcnt(0)
	v_mad_u64_u32 v[4:5], s[8:9], s0, v12, 0
	s_load_dwordx2 s[8:9], s[4:5], 0x50
	v_mov_b32_e32 v1, v5
	v_mad_u64_u32 v[5:6], s[0:1], s1, v12, v[1:2]
	s_waitcnt lgkmcnt(0)
	v_mov_b32_e32 v6, s9
	v_lshlrev_b64 v[0:1], 3, v[4:5]
	v_add_co_u32_e64 v0, s[0:1], s8, v0
	v_addc_co_u32_e64 v1, s[0:1], v6, v1, s[0:1]
	v_add_co_u32_e64 v4, s[0:1], v0, v11
	v_addc_co_u32_e64 v5, s[0:1], 0, v1, s[0:1]
	global_load_dwordx2 v[6:7], v[4:5], off
	global_load_dwordx2 v[8:9], v[4:5], off offset:112
	global_load_dwordx2 v[13:14], v[4:5], off offset:224
	;; [unrolled: 1-line block ×5, first 2 shown]
	v_add3_u32 v4, 0, v2, v11
	v_cmp_eq_u16_e64 s[0:1], 13, v10
	s_waitcnt vmcnt(4)
	ds_write2_b64 v4, v[6:7], v[8:9] offset1:14
	s_waitcnt vmcnt(2)
	ds_write2_b64 v4, v[13:14], v[15:16] offset0:28 offset1:42
	s_waitcnt vmcnt(0)
	ds_write2_b64 v4, v[17:18], v[19:20] offset0:56 offset1:70
	v_mov_b32_e32 v13, v10
	s_and_saveexec_b64 s[8:9], s[0:1]
	s_cbranch_execz .LBB0_5
; %bb.4:
	global_load_dwordx2 v[0:1], v[0:1], off offset:672
	v_mov_b32_e32 v10, 13
	v_mov_b32_e32 v13, 13
	s_waitcnt vmcnt(0)
	ds_write_b64 v4, v[0:1] offset:568
.LBB0_5:
	s_or_b64 exec, exec, s[8:9]
.LBB0_6:
	s_or_b64 exec, exec, s[10:11]
	v_lshl_add_u32 v16, v3, 3, 0
	v_lshlrev_b32_e32 v4, 3, v13
	v_add_u32_e32 v17, v16, v4
	s_waitcnt lgkmcnt(0)
	s_barrier
	v_sub_u32_e32 v3, v16, v4
	ds_read_b32 v5, v17
	ds_read_b32 v6, v3 offset:672
	v_cmp_ne_u16_e64 s[0:1], 0, v10
	s_waitcnt lgkmcnt(0)
	v_add_f32_e32 v0, v6, v5
	v_sub_f32_e32 v1, v5, v6
	s_and_saveexec_b64 s[8:9], s[0:1]
	s_xor_b64 s[0:1], exec, s[8:9]
	s_cbranch_execz .LBB0_8
; %bb.7:
	v_mov_b32_e32 v0, 3
	v_lshlrev_b32_sdwa v0, v0, v10 dst_sel:DWORD dst_unused:UNUSED_PAD src0_sel:DWORD src1_sel:WORD_0
	global_load_dwordx2 v[7:8], v0, s[6:7] offset:656
	ds_read_b32 v0, v3 offset:676
	ds_read_b32 v1, v17 offset:4
	v_add_f32_e32 v9, v6, v5
	v_sub_f32_e32 v11, v5, v6
	s_waitcnt lgkmcnt(0)
	v_add_f32_e32 v14, v0, v1
	v_sub_f32_e32 v0, v1, v0
	s_waitcnt vmcnt(0)
	v_fma_f32 v5, -v11, v8, v9
	v_fma_f32 v6, v14, v8, -v0
	v_fma_f32 v15, v11, v8, v9
	v_fma_f32 v1, v14, v8, v0
	v_fmac_f32_e32 v5, v7, v14
	v_fmac_f32_e32 v6, v11, v7
	v_fma_f32 v0, -v7, v14, v15
	v_fmac_f32_e32 v1, v11, v7
	ds_write_b64 v3, v[5:6] offset:672
.LBB0_8:
	s_andn2_saveexec_b64 s[0:1], s[0:1]
	s_cbranch_execz .LBB0_10
; %bb.9:
	ds_read_b64 v[5:6], v16 offset:336
	s_waitcnt lgkmcnt(0)
	v_add_f32_e32 v5, v5, v5
	v_mul_f32_e32 v6, -2.0, v6
	ds_write_b64 v16, v[5:6] offset:336
.LBB0_10:
	s_or_b64 exec, exec, s[0:1]
	v_mov_b32_e32 v14, 0
	s_add_u32 s0, s6, 0x290
	v_lshlrev_b64 v[5:6], 3, v[13:14]
	s_addc_u32 s1, s7, 0
	v_mov_b32_e32 v7, s1
	v_add_co_u32_e64 v5, s[0:1], s0, v5
	v_addc_co_u32_e64 v6, s[0:1], v7, v6, s[0:1]
	global_load_dwordx2 v[7:8], v[5:6], off offset:112
	global_load_dwordx2 v[14:15], v[5:6], off offset:224
	ds_write_b64 v17, v[0:1]
	ds_read_b64 v[0:1], v17 offset:112
	ds_read_b64 v[5:6], v3 offset:560
	v_add3_u32 v18, 0, v4, v2
	v_and_b32_e32 v11, 1, v13
	v_add_u32_e32 v23, v18, v4
	v_mul_u32_u24_e32 v4, 5, v11
	s_waitcnt lgkmcnt(0)
	v_add_f32_e32 v19, v0, v5
	v_add_f32_e32 v20, v6, v1
	v_sub_f32_e32 v21, v0, v5
	v_sub_f32_e32 v0, v1, v6
	v_lshlrev_b32_e32 v24, 3, v4
	v_lshlrev_b32_e32 v9, 4, v13
	v_add3_u32 v9, v9, 0, v2
	v_cmp_gt_u16_e64 s[0:1], 12, v10
	s_waitcnt vmcnt(1)
	v_fma_f32 v22, v21, v8, v19
	v_fma_f32 v1, v20, v8, v0
	v_fma_f32 v5, -v21, v8, v19
	v_fma_f32 v6, v20, v8, -v0
	v_fma_f32 v0, -v7, v20, v22
	v_fmac_f32_e32 v1, v21, v7
	v_fmac_f32_e32 v5, v7, v20
	;; [unrolled: 1-line block ×3, first 2 shown]
	ds_write_b64 v17, v[0:1] offset:112
	ds_write_b64 v3, v[5:6] offset:560
	ds_read_b64 v[0:1], v17 offset:224
	ds_read_b64 v[5:6], v3 offset:448
	s_waitcnt lgkmcnt(0)
	v_add_f32_e32 v4, v0, v5
	v_add_f32_e32 v7, v6, v1
	v_sub_f32_e32 v8, v0, v5
	v_sub_f32_e32 v0, v1, v6
	s_waitcnt vmcnt(0)
	v_fma_f32 v6, v8, v15, v4
	v_fma_f32 v1, v7, v15, v0
	v_fma_f32 v4, -v8, v15, v4
	v_fma_f32 v5, v7, v15, -v0
	v_fma_f32 v0, -v14, v7, v6
	v_fmac_f32_e32 v1, v8, v14
	v_fmac_f32_e32 v4, v14, v7
	;; [unrolled: 1-line block ×3, first 2 shown]
	ds_write_b64 v17, v[0:1] offset:224
	ds_write_b64 v3, v[4:5] offset:448
	s_waitcnt lgkmcnt(0)
	s_barrier
	s_barrier
	ds_read2_b64 v[3:6], v18 offset0:42 offset1:56
	ds_read2_b64 v[19:22], v18 offset0:14 offset1:28
	ds_read_b64 v[0:1], v17
	ds_read_b64 v[7:8], v18 offset:560
	s_waitcnt lgkmcnt(0)
	s_barrier
	v_sub_f32_e32 v5, v19, v5
	v_sub_f32_e32 v3, v0, v3
	;; [unrolled: 1-line block ×6, first 2 shown]
	v_fma_f32 v0, v0, 2.0, -v3
	v_fma_f32 v1, v1, 2.0, -v4
	;; [unrolled: 1-line block ×6, first 2 shown]
	ds_write2_b64 v23, v[0:1], v[3:4] offset1:1
	ds_write2_b64 v9, v[14:15], v[5:6] offset0:28 offset1:29
	ds_write2_b64 v9, v[19:20], v[7:8] offset0:56 offset1:57
	s_waitcnt lgkmcnt(0)
	s_barrier
	global_load_dwordx4 v[3:6], v24, s[6:7]
	global_load_dwordx4 v[19:22], v24, s[6:7] offset:16
	global_load_dwordx2 v[0:1], v24, s[6:7] offset:32
	ds_read2_b64 v[23:26], v18 offset0:14 offset1:28
	v_lshrrev_b32_e32 v7, 1, v13
	v_mul_u32_u24_e32 v7, 12, v7
	v_or_b32_e32 v7, v7, v11
	v_lshlrev_b32_e32 v7, 3, v7
	v_add3_u32 v11, 0, v7, v2
	ds_read2_b64 v[27:30], v18 offset0:42 offset1:56
	s_waitcnt vmcnt(2) lgkmcnt(1)
	v_mul_f32_e32 v2, v4, v24
	v_mul_f32_e32 v7, v4, v23
	;; [unrolled: 1-line block ×4, first 2 shown]
	v_fma_f32 v9, v3, v23, -v2
	v_fmac_f32_e32 v7, v3, v24
	v_fma_f32 v4, v5, v25, -v4
	v_fmac_f32_e32 v8, v5, v26
	ds_read_b64 v[5:6], v17
	ds_read_b64 v[2:3], v18 offset:560
	s_waitcnt vmcnt(1) lgkmcnt(2)
	v_mul_f32_e32 v14, v20, v28
	v_mul_f32_e32 v15, v20, v27
	v_mul_f32_e32 v20, v22, v30
	v_fma_f32 v14, v19, v27, -v14
	v_fmac_f32_e32 v15, v19, v28
	v_fma_f32 v19, v21, v29, -v20
	s_waitcnt vmcnt(0) lgkmcnt(0)
	v_mul_f32_e32 v20, v1, v3
	v_mul_f32_e32 v1, v1, v2
	v_mul_f32_e32 v22, v22, v29
	v_fma_f32 v2, v0, v2, -v20
	v_fmac_f32_e32 v1, v0, v3
	v_fmac_f32_e32 v22, v21, v30
	v_add_f32_e32 v24, v14, v2
	v_sub_f32_e32 v25, v15, v1
	v_add_f32_e32 v26, v7, v15
	v_add_f32_e32 v15, v15, v1
	v_add_f32_e32 v0, v5, v4
	v_add_f32_e32 v3, v4, v19
	v_sub_f32_e32 v20, v8, v22
	v_add_f32_e32 v21, v6, v8
	v_add_f32_e32 v8, v8, v22
	v_sub_f32_e32 v23, v4, v19
	v_add_f32_e32 v4, v9, v14
	v_fmac_f32_e32 v9, -0.5, v24
	v_fmac_f32_e32 v7, -0.5, v15
	v_sub_f32_e32 v27, v14, v2
	v_add_f32_e32 v0, v0, v19
	v_fma_f32 v19, -0.5, v3, v5
	v_fmac_f32_e32 v6, -0.5, v8
	v_add_f32_e32 v2, v4, v2
	v_mov_b32_e32 v8, v9
	v_fmac_f32_e32 v9, 0xbf5db3d7, v25
	v_mov_b32_e32 v24, v7
	v_add_f32_e32 v3, v21, v22
	v_add_f32_e32 v1, v26, v1
	v_mov_b32_e32 v21, v19
	v_fmac_f32_e32 v7, 0x3f5db3d7, v27
	v_add_f32_e32 v14, v0, v2
	v_sub_f32_e32 v4, v0, v2
	v_fmac_f32_e32 v8, 0x3f5db3d7, v25
	v_fmac_f32_e32 v24, 0xbf5db3d7, v27
	v_mul_f32_e32 v0, -0.5, v9
	v_fmac_f32_e32 v19, 0xbf5db3d7, v20
	v_mov_b32_e32 v22, v6
	v_add_f32_e32 v15, v3, v1
	v_sub_f32_e32 v5, v3, v1
	v_fmac_f32_e32 v21, 0x3f5db3d7, v20
	v_mul_f32_e32 v1, -0.5, v7
	v_mul_f32_e32 v20, 0x3f5db3d7, v24
	v_fmac_f32_e32 v0, 0x3f5db3d7, v7
	v_mul_f32_e32 v7, 0xbf5db3d7, v8
	v_fmac_f32_e32 v6, 0x3f5db3d7, v23
	v_fmac_f32_e32 v22, 0xbf5db3d7, v23
	v_fmac_f32_e32 v1, 0xbf5db3d7, v9
	v_fmac_f32_e32 v20, 0.5, v8
	v_fmac_f32_e32 v7, 0.5, v24
	v_add_f32_e32 v2, v19, v0
	v_add_f32_e32 v3, v6, v1
	v_sub_f32_e32 v8, v19, v0
	v_sub_f32_e32 v9, v6, v1
	v_add_f32_e32 v0, v21, v20
	v_add_f32_e32 v1, v22, v7
	v_sub_f32_e32 v6, v21, v20
	v_sub_f32_e32 v7, v22, v7
	s_barrier
	ds_write2_b64 v11, v[2:3], v[4:5] offset0:4 offset1:6
	ds_write2_b64 v11, v[14:15], v[0:1] offset1:2
	ds_write2_b64 v11, v[6:7], v[8:9] offset0:8 offset1:10
	s_waitcnt lgkmcnt(0)
	s_barrier
	s_and_saveexec_b64 s[8:9], s[0:1]
	s_cbranch_execz .LBB0_12
; %bb.11:
	ds_read_b64 v[14:15], v17
	ds_read2_b64 v[0:3], v18 offset0:12 offset1:24
	ds_read2_b64 v[4:7], v18 offset0:36 offset1:48
	;; [unrolled: 1-line block ×3, first 2 shown]
.LBB0_12:
	s_or_b64 exec, exec, s[8:9]
	s_waitcnt lgkmcnt(0)
	s_barrier
	s_and_saveexec_b64 s[8:9], s[0:1]
	s_cbranch_execz .LBB0_14
; %bb.13:
	v_add_u32_e32 v19, -12, v13
	v_cndmask_b32_e64 v19, v19, v13, s[0:1]
	v_mul_i32_i24_e32 v19, 6, v19
	v_mov_b32_e32 v20, 0
	v_lshlrev_b64 v[19:20], 3, v[19:20]
	v_mov_b32_e32 v21, s7
	v_add_co_u32_e64 v23, s[0:1], s6, v19
	v_addc_co_u32_e64 v24, s[0:1], v21, v20, s[0:1]
	global_load_dwordx4 v[19:22], v[23:24], off offset:96
	s_mov_b32 s0, 0xbeae86e6
	s_mov_b32 s1, 0xbf3bfb3b
	s_mov_b32 s6, 0x3f3bfb3b
	s_waitcnt vmcnt(0)
	v_mul_f32_e32 v26, v5, v20
	v_mul_f32_e32 v20, v4, v20
	;; [unrolled: 1-line block ×3, first 2 shown]
	v_fma_f32 v26, v4, v19, -v26
	v_fmac_f32_e32 v20, v5, v19
	v_mul_f32_e32 v19, v6, v22
	v_fma_f32 v25, v6, v21, -v25
	v_fmac_f32_e32 v19, v7, v21
	global_load_dwordx4 v[4:7], v[23:24], off offset:112
	s_waitcnt vmcnt(0)
	v_mul_f32_e32 v21, v11, v7
	v_mul_f32_e32 v22, v9, v5
	v_fma_f32 v21, v10, v6, -v21
	v_fma_f32 v22, v8, v4, -v22
	v_mul_f32_e32 v10, v10, v7
	v_mul_f32_e32 v8, v8, v5
	v_fmac_f32_e32 v10, v11, v6
	v_fmac_f32_e32 v8, v9, v4
	global_load_dwordx4 v[4:7], v[23:24], off offset:80
	v_add_f32_e32 v24, v26, v25
	s_waitcnt vmcnt(0)
	v_mul_f32_e32 v11, v3, v7
	v_mul_f32_e32 v9, v1, v5
	v_fma_f32 v11, v2, v6, -v11
	v_mul_f32_e32 v5, v0, v5
	v_mul_f32_e32 v2, v2, v7
	v_fmac_f32_e32 v5, v1, v4
	v_fmac_f32_e32 v2, v3, v6
	v_fma_f32 v9, v0, v4, -v9
	v_add_f32_e32 v3, v5, v10
	v_add_f32_e32 v6, v2, v8
	;; [unrolled: 1-line block ×10, first 2 shown]
	v_sub_f32_e32 v9, v9, v21
	v_sub_f32_e32 v14, v25, v26
	;; [unrolled: 1-line block ×8, first 2 shown]
	v_add_f32_e32 v14, v14, v11
	v_sub_f32_e32 v11, v11, v9
	v_add_f32_e32 v9, v14, v9
	v_sub_f32_e32 v14, v5, v10
	v_sub_f32_e32 v22, v10, v2
	v_add_f32_e32 v10, v10, v2
	v_sub_f32_e32 v2, v2, v5
	v_add_f32_e32 v10, v10, v5
	v_mul_f32_e32 v5, 0xbf08b237, v21
	v_sub_f32_e32 v8, v3, v4
	v_sub_f32_e32 v4, v4, v6
	;; [unrolled: 1-line block ×5, first 2 shown]
	v_mul_f32_e32 v21, 0x3f5ff5aa, v11
	v_mov_b32_e32 v23, v5
	v_fma_f32 v21, v20, s0, -v21
	v_fmac_f32_e32 v23, 0x3eae86e6, v20
	v_mul_f32_e32 v8, 0x3f4a47b2, v8
	v_mul_f32_e32 v20, 0x3d64c772, v4
	v_fma_f32 v20, v3, s6, -v20
	v_fma_f32 v3, v3, s1, -v8
	v_fmac_f32_e32 v8, 0x3d64c772, v4
	v_mul_f32_e32 v4, 0xbf08b237, v22
	v_add_f32_e32 v1, v15, v7
	v_sub_f32_e32 v15, v24, v27
	v_mul_f32_e32 v22, 0x3f5ff5aa, v2
	v_mov_b32_e32 v24, v4
	v_fma_f32 v22, v14, s0, -v22
	v_fmac_f32_e32 v24, 0x3eae86e6, v14
	v_mov_b32_e32 v14, v1
	v_fmac_f32_e32 v14, 0xbf955555, v7
	v_add_f32_e32 v25, v8, v14
	v_add_f32_e32 v8, v3, v14
	s_mov_b32 s0, 0x3f5ff5aa
	v_mul_f32_e32 v3, 0x3f4a47b2, v6
	v_mov_b32_e32 v7, v0
	v_fma_f32 v4, v2, s0, -v4
	v_mov_b32_e32 v2, v3
	v_fmac_f32_e32 v7, 0xbf955555, v28
	v_fmac_f32_e32 v2, 0x3d64c772, v15
	v_add_f32_e32 v14, v20, v14
	v_mul_f32_e32 v6, 0x3d64c772, v15
	v_add_f32_e32 v20, v2, v7
	v_fma_f32 v2, v19, s1, -v3
	v_fma_f32 v5, v11, s0, -v5
	v_add_f32_e32 v11, v2, v7
	v_fma_f32 v2, v19, s6, -v6
	v_fmac_f32_e32 v23, 0x3ee1c552, v9
	v_fmac_f32_e32 v21, 0x3ee1c552, v9
	;; [unrolled: 1-line block ×3, first 2 shown]
	v_add_f32_e32 v6, v2, v7
	v_fmac_f32_e32 v4, 0x3ee1c552, v10
	v_fmac_f32_e32 v22, 0x3ee1c552, v10
	;; [unrolled: 1-line block ×3, first 2 shown]
	v_sub_f32_e32 v3, v14, v5
	v_add_f32_e32 v2, v4, v6
	v_add_f32_e32 v5, v5, v14
	v_sub_f32_e32 v4, v6, v4
	v_add_f32_e32 v7, v21, v8
	v_sub_f32_e32 v6, v11, v22
	v_sub_f32_e32 v9, v8, v21
	v_add_f32_e32 v8, v22, v11
	v_add_f32_e32 v11, v23, v25
	v_sub_f32_e32 v10, v20, v24
	v_sub_f32_e32 v15, v25, v23
	v_add_f32_e32 v14, v24, v20
	ds_write_b64 v17, v[0:1]
	ds_write2_b64 v18, v[14:15], v[8:9] offset0:12 offset1:24
	ds_write2_b64 v18, v[4:5], v[2:3] offset0:36 offset1:48
	;; [unrolled: 1-line block ×3, first 2 shown]
.LBB0_14:
	s_or_b64 exec, exec, s[8:9]
	s_waitcnt lgkmcnt(0)
	s_barrier
	s_and_saveexec_b64 s[0:1], vcc
	s_cbranch_execz .LBB0_16
; %bb.15:
	v_mad_u64_u32 v[4:5], s[0:1], s2, v12, 0
	s_load_dwordx2 s[0:1], s[4:5], 0x58
	v_mov_b32_e32 v14, 0
	v_mov_b32_e32 v0, v5
	v_mad_u64_u32 v[5:6], s[2:3], s3, v12, v[0:1]
	v_lshl_add_u32 v6, v13, 3, v16
	ds_read2_b64 v[0:3], v6 offset1:14
	v_lshlrev_b64 v[4:5], 3, v[4:5]
	s_waitcnt lgkmcnt(0)
	v_mov_b32_e32 v7, s1
	v_add_co_u32_e32 v8, vcc, s0, v4
	v_addc_co_u32_e32 v7, vcc, v7, v5, vcc
	v_lshlrev_b64 v[4:5], 3, v[13:14]
	v_add_co_u32_e32 v4, vcc, v8, v4
	v_addc_co_u32_e32 v5, vcc, v7, v5, vcc
	global_store_dwordx2 v[4:5], v[0:1], off
	v_add_u32_e32 v0, 14, v13
	v_mov_b32_e32 v1, v14
	v_lshlrev_b64 v[0:1], 3, v[0:1]
	v_add_u32_e32 v4, 28, v13
	v_add_co_u32_e32 v0, vcc, v8, v0
	v_addc_co_u32_e32 v1, vcc, v7, v1, vcc
	global_store_dwordx2 v[0:1], v[2:3], off
	v_mov_b32_e32 v5, v14
	ds_read2_b64 v[0:3], v6 offset0:28 offset1:42
	v_lshlrev_b64 v[4:5], 3, v[4:5]
	v_add_co_u32_e32 v4, vcc, v8, v4
	v_addc_co_u32_e32 v5, vcc, v7, v5, vcc
	s_waitcnt lgkmcnt(0)
	global_store_dwordx2 v[4:5], v[0:1], off
	v_add_u32_e32 v0, 42, v13
	v_mov_b32_e32 v1, v14
	v_lshlrev_b64 v[0:1], 3, v[0:1]
	v_add_u32_e32 v4, 56, v13
	v_add_co_u32_e32 v0, vcc, v8, v0
	v_addc_co_u32_e32 v1, vcc, v7, v1, vcc
	global_store_dwordx2 v[0:1], v[2:3], off
	v_mov_b32_e32 v5, v14
	ds_read2_b64 v[0:3], v6 offset0:56 offset1:70
	v_lshlrev_b64 v[4:5], 3, v[4:5]
	v_add_u32_e32 v13, 0x46, v13
	v_add_co_u32_e32 v4, vcc, v8, v4
	v_addc_co_u32_e32 v5, vcc, v7, v5, vcc
	s_waitcnt lgkmcnt(0)
	global_store_dwordx2 v[4:5], v[0:1], off
	v_lshlrev_b64 v[0:1], 3, v[13:14]
	v_add_co_u32_e32 v0, vcc, v8, v0
	v_addc_co_u32_e32 v1, vcc, v7, v1, vcc
	global_store_dwordx2 v[0:1], v[2:3], off
.LBB0_16:
	s_endpgm
	.section	.rodata,"a",@progbits
	.p2align	6, 0x0
	.amdhsa_kernel fft_rtc_fwd_len84_factors_2_6_7_wgs_126_tpt_14_dim1_sp_op_CI_CI_unitstride_sbrr_C2R_dirReg
		.amdhsa_group_segment_fixed_size 0
		.amdhsa_private_segment_fixed_size 0
		.amdhsa_kernarg_size 96
		.amdhsa_user_sgpr_count 6
		.amdhsa_user_sgpr_private_segment_buffer 1
		.amdhsa_user_sgpr_dispatch_ptr 0
		.amdhsa_user_sgpr_queue_ptr 0
		.amdhsa_user_sgpr_kernarg_segment_ptr 1
		.amdhsa_user_sgpr_dispatch_id 0
		.amdhsa_user_sgpr_flat_scratch_init 0
		.amdhsa_user_sgpr_private_segment_size 0
		.amdhsa_uses_dynamic_stack 0
		.amdhsa_system_sgpr_private_segment_wavefront_offset 0
		.amdhsa_system_sgpr_workgroup_id_x 1
		.amdhsa_system_sgpr_workgroup_id_y 0
		.amdhsa_system_sgpr_workgroup_id_z 0
		.amdhsa_system_sgpr_workgroup_info 0
		.amdhsa_system_vgpr_workitem_id 0
		.amdhsa_next_free_vgpr 31
		.amdhsa_next_free_sgpr 12
		.amdhsa_reserve_vcc 1
		.amdhsa_reserve_flat_scratch 0
		.amdhsa_float_round_mode_32 0
		.amdhsa_float_round_mode_16_64 0
		.amdhsa_float_denorm_mode_32 3
		.amdhsa_float_denorm_mode_16_64 3
		.amdhsa_dx10_clamp 1
		.amdhsa_ieee_mode 1
		.amdhsa_fp16_overflow 0
		.amdhsa_exception_fp_ieee_invalid_op 0
		.amdhsa_exception_fp_denorm_src 0
		.amdhsa_exception_fp_ieee_div_zero 0
		.amdhsa_exception_fp_ieee_overflow 0
		.amdhsa_exception_fp_ieee_underflow 0
		.amdhsa_exception_fp_ieee_inexact 0
		.amdhsa_exception_int_div_zero 0
	.end_amdhsa_kernel
	.text
.Lfunc_end0:
	.size	fft_rtc_fwd_len84_factors_2_6_7_wgs_126_tpt_14_dim1_sp_op_CI_CI_unitstride_sbrr_C2R_dirReg, .Lfunc_end0-fft_rtc_fwd_len84_factors_2_6_7_wgs_126_tpt_14_dim1_sp_op_CI_CI_unitstride_sbrr_C2R_dirReg
                                        ; -- End function
	.section	.AMDGPU.csdata,"",@progbits
; Kernel info:
; codeLenInByte = 2712
; NumSgprs: 16
; NumVgprs: 31
; ScratchSize: 0
; MemoryBound: 0
; FloatMode: 240
; IeeeMode: 1
; LDSByteSize: 0 bytes/workgroup (compile time only)
; SGPRBlocks: 1
; VGPRBlocks: 7
; NumSGPRsForWavesPerEU: 16
; NumVGPRsForWavesPerEU: 31
; Occupancy: 8
; WaveLimiterHint : 1
; COMPUTE_PGM_RSRC2:SCRATCH_EN: 0
; COMPUTE_PGM_RSRC2:USER_SGPR: 6
; COMPUTE_PGM_RSRC2:TRAP_HANDLER: 0
; COMPUTE_PGM_RSRC2:TGID_X_EN: 1
; COMPUTE_PGM_RSRC2:TGID_Y_EN: 0
; COMPUTE_PGM_RSRC2:TGID_Z_EN: 0
; COMPUTE_PGM_RSRC2:TIDIG_COMP_CNT: 0
	.type	__hip_cuid_a2a2bba178e54f70,@object ; @__hip_cuid_a2a2bba178e54f70
	.section	.bss,"aw",@nobits
	.globl	__hip_cuid_a2a2bba178e54f70
__hip_cuid_a2a2bba178e54f70:
	.byte	0                               ; 0x0
	.size	__hip_cuid_a2a2bba178e54f70, 1

	.ident	"AMD clang version 19.0.0git (https://github.com/RadeonOpenCompute/llvm-project roc-6.4.0 25133 c7fe45cf4b819c5991fe208aaa96edf142730f1d)"
	.section	".note.GNU-stack","",@progbits
	.addrsig
	.addrsig_sym __hip_cuid_a2a2bba178e54f70
	.amdgpu_metadata
---
amdhsa.kernels:
  - .args:
      - .actual_access:  read_only
        .address_space:  global
        .offset:         0
        .size:           8
        .value_kind:     global_buffer
      - .actual_access:  read_only
        .address_space:  global
        .offset:         8
        .size:           8
        .value_kind:     global_buffer
      - .actual_access:  read_only
        .address_space:  global
        .offset:         16
        .size:           8
        .value_kind:     global_buffer
      - .actual_access:  read_only
        .address_space:  global
        .offset:         24
        .size:           8
        .value_kind:     global_buffer
      - .offset:         32
        .size:           8
        .value_kind:     by_value
      - .actual_access:  read_only
        .address_space:  global
        .offset:         40
        .size:           8
        .value_kind:     global_buffer
      - .actual_access:  read_only
        .address_space:  global
        .offset:         48
        .size:           8
        .value_kind:     global_buffer
      - .offset:         56
        .size:           4
        .value_kind:     by_value
      - .actual_access:  read_only
        .address_space:  global
        .offset:         64
        .size:           8
        .value_kind:     global_buffer
      - .actual_access:  read_only
        .address_space:  global
        .offset:         72
        .size:           8
        .value_kind:     global_buffer
      - .actual_access:  read_only
        .address_space:  global
        .offset:         80
        .size:           8
        .value_kind:     global_buffer
      - .actual_access:  write_only
        .address_space:  global
        .offset:         88
        .size:           8
        .value_kind:     global_buffer
    .group_segment_fixed_size: 0
    .kernarg_segment_align: 8
    .kernarg_segment_size: 96
    .language:       OpenCL C
    .language_version:
      - 2
      - 0
    .max_flat_workgroup_size: 126
    .name:           fft_rtc_fwd_len84_factors_2_6_7_wgs_126_tpt_14_dim1_sp_op_CI_CI_unitstride_sbrr_C2R_dirReg
    .private_segment_fixed_size: 0
    .sgpr_count:     16
    .sgpr_spill_count: 0
    .symbol:         fft_rtc_fwd_len84_factors_2_6_7_wgs_126_tpt_14_dim1_sp_op_CI_CI_unitstride_sbrr_C2R_dirReg.kd
    .uniform_work_group_size: 1
    .uses_dynamic_stack: false
    .vgpr_count:     31
    .vgpr_spill_count: 0
    .wavefront_size: 64
amdhsa.target:   amdgcn-amd-amdhsa--gfx906
amdhsa.version:
  - 1
  - 2
...

	.end_amdgpu_metadata
